;; amdgpu-corpus repo=ROCm/rocFFT kind=compiled arch=gfx1030 opt=O3
	.text
	.amdgcn_target "amdgcn-amd-amdhsa--gfx1030"
	.amdhsa_code_object_version 6
	.protected	bluestein_single_fwd_len192_dim1_sp_op_CI_CI ; -- Begin function bluestein_single_fwd_len192_dim1_sp_op_CI_CI
	.globl	bluestein_single_fwd_len192_dim1_sp_op_CI_CI
	.p2align	8
	.type	bluestein_single_fwd_len192_dim1_sp_op_CI_CI,@function
bluestein_single_fwd_len192_dim1_sp_op_CI_CI: ; @bluestein_single_fwd_len192_dim1_sp_op_CI_CI
; %bb.0:
	s_load_dwordx4 s[16:19], s[4:5], 0x28
	v_lshrrev_b32_e32 v20, 4, v0
	v_mov_b32_e32 v25, 0
	s_mov_b32 s0, exec_lo
	v_lshl_or_b32 v24, s6, 3, v20
	s_waitcnt lgkmcnt(0)
	v_cmpx_gt_u64_e64 s[16:17], v[24:25]
	s_cbranch_execz .LBB0_2
; %bb.1:
	s_clause 0x1
	s_load_dwordx4 s[0:3], s[4:5], 0x18
	s_load_dwordx4 s[8:11], s[4:5], 0x0
	v_and_b32_e32 v31, 15, v0
	s_load_dwordx2 s[4:5], s[4:5], 0x38
	v_lshlrev_b32_e32 v26, 3, v31
	v_or_b32_e32 v29, 32, v31
	v_mul_u32_u24_e32 v36, 6, v31
	s_waitcnt lgkmcnt(0)
	s_load_dwordx4 s[12:15], s[0:1], 0x0
	s_add_u32 s6, s8, 0x600
	s_addc_u32 s7, s9, 0
	s_clause 0x4
	global_load_dwordx2 v[48:49], v26, s[8:9]
	global_load_dwordx2 v[50:51], v26, s[8:9] offset:256
	global_load_dwordx2 v[52:53], v26, s[8:9] offset:512
	;; [unrolled: 1-line block ×4, first 2 shown]
	s_waitcnt lgkmcnt(0)
	v_mad_u64_u32 v[0:1], null, s14, v24, 0
	v_mad_u64_u32 v[2:3], null, s12, v31, 0
	s_lshl_b64 s[0:1], s[12:13], 8
	v_mad_u64_u32 v[4:5], null, s15, v24, v[1:2]
	v_mad_u64_u32 v[5:6], null, s13, v31, v[3:4]
	v_mov_b32_e32 v1, v4
	s_mulk_i32 s13, 0xfb80
	v_lshlrev_b64 v[0:1], 3, v[0:1]
	v_mov_b32_e32 v3, v5
	v_add_co_u32 v0, vcc_lo, s18, v0
	v_lshlrev_b64 v[2:3], 3, v[2:3]
	v_add_co_ci_u32_e32 v1, vcc_lo, s19, v1, vcc_lo
	v_add_co_u32 v0, vcc_lo, v0, v2
	v_add_co_ci_u32_e32 v1, vcc_lo, v1, v3, vcc_lo
	v_add_co_u32 v2, vcc_lo, v0, s0
	v_add_co_ci_u32_e32 v3, vcc_lo, s1, v1, vcc_lo
	global_load_dwordx2 v[4:5], v[0:1], off
	v_add_co_u32 v6, vcc_lo, v2, s0
	v_add_co_ci_u32_e32 v7, vcc_lo, s1, v3, vcc_lo
	global_load_dwordx2 v[0:1], v[2:3], off
	;; [unrolled: 3-line block ×3, first 2 shown]
	s_clause 0x1
	global_load_dwordx2 v[58:59], v26, s[8:9] offset:384
	global_load_dwordx2 v[60:61], v26, s[8:9] offset:128
	v_add_co_u32 v10, vcc_lo, v8, s0
	v_add_co_ci_u32_e32 v11, vcc_lo, s1, v9, vcc_lo
	global_load_dwordx2 v[6:7], v[8:9], off
	s_clause 0x1
	global_load_dwordx2 v[62:63], v26, s[8:9] offset:768
	global_load_dwordx2 v[64:65], v26, s[8:9] offset:896
	v_add_co_u32 v12, vcc_lo, v10, s0
	v_add_co_ci_u32_e32 v13, vcc_lo, s1, v11, vcc_lo
	global_load_dwordx2 v[18:19], v[10:11], off
	global_load_dwordx2 v[66:67], v26, s[8:9] offset:640
	v_mad_u64_u32 v[16:17], null, 0xfffffb80, s12, v[12:13]
	s_sub_i32 s12, s13, s12
	global_load_dwordx2 v[14:15], v[12:13], off
	v_add_nc_u32_e32 v17, s12, v17
	v_add_co_u32 v8, vcc_lo, v16, s0
	v_add_co_ci_u32_e32 v9, vcc_lo, s1, v17, vcc_lo
	v_add_co_u32 v10, vcc_lo, v8, s0
	global_load_dwordx2 v[16:17], v[16:17], off
	v_add_co_ci_u32_e32 v11, vcc_lo, s1, v9, vcc_lo
	v_add_co_u32 v12, vcc_lo, v10, s0
	global_load_dwordx2 v[8:9], v[8:9], off
	;; [unrolled: 3-line block ×4, first 2 shown]
	v_add_co_ci_u32_e32 v28, vcc_lo, s1, v22, vcc_lo
	s_clause 0x1
	global_load_dwordx2 v[68:69], v26, s[8:9] offset:1408
	global_load_dwordx2 v[70:71], v26, s[8:9] offset:1152
	global_load_dwordx2 v[32:33], v[21:22], off
	global_load_dwordx2 v[34:35], v[27:28], off
	s_load_dwordx4 s[0:3], s[2:3], 0x0
	v_mul_lo_u16 v22, v31, 43
	v_mul_u32_u24_e32 v27, 0xc0, v20
	v_lshrrev_b16 v28, 8, v22
	v_or_b32_e32 v30, v27, v31
	v_add_lshl_u32 v100, v27, v36, 3
	v_lshl_or_b32 v99, v27, 3, v26
	v_lshlrev_b32_e32 v98, 3, v30
	s_waitcnt lgkmcnt(0)
	v_mad_u64_u32 v[72:73], null, s2, v24, 0
	v_mov_b32_e32 v21, v73
	v_mad_u64_u32 v[73:74], null, s3, v24, v[21:22]
	v_or_b32_e32 v24, 16, v31
	v_mul_lo_u16 v21, v29, 43
	v_mul_lo_u16 v22, v28, 6
	;; [unrolled: 1-line block ×3, first 2 shown]
	v_lshrrev_b16 v23, 8, v21
	v_sub_nc_u16 v21, v31, v22
	v_cmp_gt_u64_e32 vcc_lo, 24, v[24:25]
	v_lshrrev_b16 v20, 8, v20
	v_mul_lo_u16 v22, v23, 6
	v_mul_lo_u16 v37, v21, 24
	;; [unrolled: 1-line block ×3, first 2 shown]
	v_sub_nc_u16 v22, v29, v22
	v_sub_nc_u16 v29, v24, v30
	v_and_b32_e32 v30, 0xf8, v37
	v_mul_lo_u16 v40, v22, 24
	v_mul_lo_u16 v41, v29, 24
	v_and_b32_e32 v40, 0xf8, v40
	s_waitcnt vmcnt(18)
	v_mul_f32_e32 v36, v5, v49
	v_mul_f32_e32 v37, v4, v49
	v_fmac_f32_e32 v36, v4, v48
	s_waitcnt vmcnt(17)
	v_mul_f32_e32 v4, v1, v51
	v_mul_f32_e32 v39, v0, v51
	s_waitcnt vmcnt(16)
	v_mul_f32_e32 v38, v3, v53
	v_mul_f32_e32 v42, v2, v53
	v_fma_f32 v37, v5, v48, -v37
	v_fmac_f32_e32 v4, v0, v50
	v_fma_f32 v5, v1, v50, -v39
	v_fmac_f32_e32 v38, v2, v52
	s_waitcnt vmcnt(12)
	v_mul_f32_e32 v0, v7, v63
	v_mul_f32_e32 v1, v6, v63
	v_fma_f32 v39, v3, v52, -v42
	ds_write_b64 v98, v[4:5] offset:256
	ds_write_b64 v98, v[36:37]
	s_waitcnt vmcnt(10)
	v_mul_f32_e32 v2, v19, v55
	v_mul_f32_e32 v3, v18, v55
	v_fmac_f32_e32 v0, v6, v62
	v_fma_f32 v1, v7, v62, -v1
	ds_write_b64 v99, v[38:39] offset:512
	v_fmac_f32_e32 v2, v18, v54
	v_fma_f32 v3, v19, v54, -v3
	s_waitcnt vmcnt(8)
	v_mul_f32_e32 v4, v15, v57
	v_mul_f32_e32 v5, v14, v57
	ds_write_b64 v99, v[0:1] offset:768
	v_add_co_u32 v36, s2, s10, v30
	v_fmac_f32_e32 v4, v14, v56
	v_fma_f32 v5, v15, v56, -v5
	ds_write_b64 v99, v[2:3] offset:1024
	ds_write_b64 v99, v[4:5] offset:1280
	v_and_b32_e32 v39, 0xf8, v41
	v_mul_u32_u24_e32 v38, 6, v24
	v_add_co_ci_u32_e64 v37, null, s11, 0, s2
	s_waitcnt vmcnt(7)
	v_mul_f32_e32 v6, v17, v61
	v_mul_f32_e32 v7, v16, v61
	v_add_lshl_u32 v101, v27, v38, 3
	v_add_co_u32 v38, s2, s10, v39
	v_fmac_f32_e32 v6, v16, v60
	v_fma_f32 v7, v17, v60, -v7
	s_waitcnt vmcnt(6)
	v_mul_f32_e32 v0, v9, v59
	v_mul_f32_e32 v1, v8, v59
	s_waitcnt vmcnt(5)
	v_mul_f32_e32 v2, v11, v67
	v_mul_f32_e32 v3, v10, v67
	ds_write_b64 v98, v[6:7] offset:128
	v_fmac_f32_e32 v0, v8, v58
	v_fma_f32 v1, v9, v58, -v1
	s_waitcnt vmcnt(4)
	v_mul_f32_e32 v4, v13, v65
	v_mul_f32_e32 v5, v12, v65
	s_waitcnt vmcnt(1)
	v_mul_f32_e32 v6, v33, v71
	v_mul_f32_e32 v7, v32, v71
	;; [unrolled: 3-line block ×3, first 2 shown]
	v_fmac_f32_e32 v2, v10, v66
	v_fma_f32 v3, v11, v66, -v3
	v_fmac_f32_e32 v4, v12, v64
	v_fma_f32 v5, v13, v64, -v5
	;; [unrolled: 2-line block ×4, first 2 shown]
	ds_write_b64 v98, v[0:1] offset:384
	ds_write_b64 v99, v[2:3] offset:640
	;; [unrolled: 1-line block ×5, first 2 shown]
	s_waitcnt lgkmcnt(0)
	s_barrier
	buffer_gl0_inv
	ds_read2_b64 v[0:3], v98 offset1:16
	ds_read2_b64 v[4:7], v99 offset0:64 offset1:80
	ds_read2_b64 v[8:11], v99 offset0:128 offset1:144
	;; [unrolled: 1-line block ×5, first 2 shown]
	v_add_co_ci_u32_e64 v39, null, s11, 0, s2
	s_waitcnt lgkmcnt(0)
	s_barrier
	buffer_gl0_inv
	v_add_f32_e32 v30, v0, v4
	v_add_f32_e32 v44, v12, v16
	v_add_f32_e32 v45, v16, v32
	v_sub_f32_e32 v46, v17, v33
	v_add_f32_e32 v47, v13, v17
	v_add_f32_e32 v17, v17, v33
	;; [unrolled: 1-line block ×3, first 2 shown]
	v_sub_f32_e32 v42, v5, v9
	v_add_f32_e32 v43, v1, v5
	v_add_f32_e32 v5, v5, v9
	v_sub_f32_e32 v76, v7, v11
	v_add_f32_e32 v77, v3, v7
	v_add_f32_e32 v7, v7, v11
	;; [unrolled: 1-line block ×3, first 2 shown]
	v_sub_f32_e32 v80, v19, v35
	v_add_f32_e32 v81, v15, v19
	v_add_f32_e32 v19, v19, v35
	v_sub_f32_e32 v4, v4, v8
	v_sub_f32_e32 v16, v16, v32
	v_add_f32_e32 v78, v14, v18
	v_add_f32_e32 v8, v30, v8
	;; [unrolled: 1-line block ×3, first 2 shown]
	v_fma_f32 v32, -0.5, v45, v12
	v_fma_f32 v17, -0.5, v17, v13
	v_add_f32_e32 v74, v2, v6
	v_add_f32_e32 v75, v6, v10
	v_sub_f32_e32 v6, v6, v10
	v_sub_f32_e32 v18, v18, v34
	v_fma_f32 v0, -0.5, v41, v0
	v_fma_f32 v1, -0.5, v5, v1
	v_fmac_f32_e32 v3, -0.5, v7
	v_fma_f32 v14, -0.5, v79, v14
	v_fmac_f32_e32 v15, -0.5, v19
	v_add_f32_e32 v9, v43, v9
	v_add_f32_e32 v41, v77, v11
	;; [unrolled: 1-line block ×4, first 2 shown]
	v_fmamk_f32 v43, v46, 0x3f5db3d7, v32
	v_fmamk_f32 v44, v16, 0xbf5db3d7, v17
	v_add_f32_e32 v12, v47, v33
	v_add_f32_e32 v33, v74, v10
	v_fmac_f32_e32 v32, 0xbf5db3d7, v46
	v_fmac_f32_e32 v17, 0x3f5db3d7, v16
	v_fmamk_f32 v35, v42, 0x3f5db3d7, v0
	v_fmac_f32_e32 v0, 0xbf5db3d7, v42
	v_fmamk_f32 v42, v4, 0xbf5db3d7, v1
	v_fmac_f32_e32 v1, 0x3f5db3d7, v4
	v_add_f32_e32 v4, v8, v30
	v_sub_f32_e32 v10, v8, v30
	v_fmamk_f32 v45, v6, 0xbf5db3d7, v3
	v_fmac_f32_e32 v3, 0x3f5db3d7, v6
	v_fmamk_f32 v6, v80, 0x3f5db3d7, v14
	v_fmamk_f32 v8, v18, 0xbf5db3d7, v15
	v_fma_f32 v2, -0.5, v75, v2
	v_fmac_f32_e32 v14, 0xbf5db3d7, v80
	v_fmac_f32_e32 v15, 0x3f5db3d7, v18
	v_add_f32_e32 v13, v41, v34
	v_sub_f32_e32 v19, v41, v34
	v_mul_f32_e32 v16, 0x3f5db3d7, v44
	v_mul_f32_e32 v41, 0xbf5db3d7, v43
	v_add_f32_e32 v5, v9, v12
	v_sub_f32_e32 v11, v9, v12
	v_add_f32_e32 v12, v33, v7
	v_sub_f32_e32 v18, v33, v7
	v_mul_f32_e32 v33, -0.5, v32
	v_mul_f32_e32 v46, -0.5, v17
	v_mul_f32_e32 v47, 0x3f5db3d7, v8
	v_mul_f32_e32 v75, 0xbf5db3d7, v6
	v_fmamk_f32 v30, v76, 0x3f5db3d7, v2
	v_fmac_f32_e32 v2, 0xbf5db3d7, v76
	v_mul_f32_e32 v74, -0.5, v14
	v_mul_f32_e32 v76, -0.5, v15
	v_fmac_f32_e32 v16, 0.5, v43
	v_fmac_f32_e32 v41, 0.5, v44
	v_fmac_f32_e32 v33, 0x3f5db3d7, v17
	v_fmac_f32_e32 v46, 0xbf5db3d7, v32
	v_fmac_f32_e32 v47, 0.5, v6
	v_fmac_f32_e32 v75, 0.5, v8
	v_fmac_f32_e32 v74, 0x3f5db3d7, v15
	v_fmac_f32_e32 v76, 0xbf5db3d7, v14
	v_add_f32_e32 v6, v35, v16
	v_add_f32_e32 v7, v42, v41
	;; [unrolled: 1-line block ×4, first 2 shown]
	v_sub_f32_e32 v32, v35, v16
	v_sub_f32_e32 v34, v0, v33
	;; [unrolled: 1-line block ×4, first 2 shown]
	v_add_f32_e32 v14, v30, v47
	v_add_f32_e32 v15, v45, v75
	;; [unrolled: 1-line block ×4, first 2 shown]
	v_sub_f32_e32 v0, v30, v47
	v_sub_f32_e32 v2, v2, v74
	;; [unrolled: 1-line block ×4, first 2 shown]
	ds_write_b128 v100, v[4:7]
	ds_write_b128 v100, v[8:11] offset:16
	ds_write_b128 v100, v[32:35] offset:32
	ds_write_b128 v101, v[12:15]
	ds_write_b128 v101, v[16:19] offset:16
	ds_write_b128 v101, v[0:3] offset:32
	v_add_co_u32 v12, s2, s10, v40
	v_add_co_ci_u32_e64 v13, null, s11, 0, s2
	s_waitcnt lgkmcnt(0)
	s_barrier
	buffer_gl0_inv
	s_clause 0x5
	global_load_dwordx4 v[0:3], v[36:37], off
	global_load_dwordx4 v[4:7], v[38:39], off
	;; [unrolled: 1-line block ×3, first 2 shown]
	global_load_dwordx2 v[78:79], v[36:37], off offset:16
	global_load_dwordx2 v[76:77], v[38:39], off offset:16
	;; [unrolled: 1-line block ×3, first 2 shown]
	v_mul_lo_u16 v12, v28, 24
	v_mul_lo_u16 v13, v23, 24
	;; [unrolled: 1-line block ×3, first 2 shown]
	v_add_nc_u32_e32 v14, -8, v31
	v_mad_u64_u32 v[44:45], null, v31, 24, s[10:11]
	v_or_b32_e32 v12, v12, v21
	v_or_b32_e32 v13, v13, v22
	v_or_b32_e32 v20, v18, v29
	v_cndmask_b32_e32 v30, v14, v24, vcc_lo
	s_lshl_b64 s[2:3], s[0:1], 8
	v_and_b32_e32 v16, 0xff, v12
	v_and_b32_e32 v17, 0xff, v13
	;; [unrolled: 1-line block ×3, first 2 shown]
	ds_read2_b64 v[12:15], v98 offset0:96 offset1:112
	v_mul_i32_i24_e32 v28, 24, v30
	v_add_lshl_u32 v102, v27, v16, 3
	v_add_lshl_u32 v103, v27, v17, 3
	ds_read2_b64 v[16:19], v98 offset0:64 offset1:80
	ds_read2_b64 v[20:23], v98 offset0:128 offset1:144
	;; [unrolled: 1-line block ×3, first 2 shown]
	v_add_lshl_u32 v104, v27, v36, 3
	ds_read2_b64 v[36:39], v98 offset1:16
	ds_read2_b64 v[40:43], v98 offset0:32 offset1:48
	v_mul_hi_i32_i24_e32 v29, 24, v30
	v_add_co_u32 v28, vcc_lo, s10, v28
	s_waitcnt vmcnt(0) lgkmcnt(0)
	s_barrier
	v_add_co_ci_u32_e32 v29, vcc_lo, s11, v29, vcc_lo
	buffer_gl0_inv
	v_cmp_lt_u64_e32 vcc_lo, 23, v[24:25]
	v_cndmask_b32_e64 v24, 0, 0x60, vcc_lo
	v_or_b32_e32 v24, v24, v30
	v_add_lshl_u32 v105, v27, v24, 3
	v_mul_f32_e32 v81, v14, v7
	v_mul_f32_e32 v83, v16, v5
	;; [unrolled: 1-line block ×18, first 2 shown]
	v_fma_f32 v12, v12, v2, -v46
	v_fmac_f32_e32 v47, v13, v2
	v_fmac_f32_e32 v81, v15, v6
	;; [unrolled: 1-line block ×3, first 2 shown]
	v_fma_f32 v15, v22, v78, -v86
	v_fmac_f32_e32 v87, v23, v78
	v_fma_f32 v17, v20, v10, -v88
	v_fma_f32 v20, v42, v0, -v94
	v_fmac_f32_e32 v95, v43, v0
	v_fma_f32 v13, v14, v6, -v80
	v_fma_f32 v14, v16, v4, -v82
	;; [unrolled: 1-line block ×4, first 2 shown]
	v_fmac_f32_e32 v91, v33, v76
	v_fmac_f32_e32 v85, v19, v8
	;; [unrolled: 1-line block ×3, first 2 shown]
	v_fma_f32 v19, v34, v74, -v92
	v_fmac_f32_e32 v93, v35, v74
	v_sub_f32_e32 v21, v36, v12
	v_sub_f32_e32 v22, v37, v47
	;; [unrolled: 1-line block ×12, first 2 shown]
	v_fma_f32 v46, v36, 2.0, -v21
	v_fma_f32 v47, v37, 2.0, -v22
	;; [unrolled: 1-line block ×4, first 2 shown]
	v_sub_f32_e32 v12, v21, v12
	v_add_f32_e32 v13, v22, v15
	v_fma_f32 v80, v38, 2.0, -v32
	v_fma_f32 v81, v39, 2.0, -v33
	;; [unrolled: 1-line block ×8, first 2 shown]
	v_add_f32_e32 v15, v33, v18
	v_sub_f32_e32 v16, v42, v19
	v_sub_f32_e32 v18, v46, v20
	;; [unrolled: 1-line block ×4, first 2 shown]
	v_fma_f32 v20, v21, 2.0, -v12
	v_fma_f32 v21, v22, 2.0, -v13
	v_sub_f32_e32 v22, v80, v35
	v_sub_f32_e32 v23, v81, v36
	v_add_f32_e32 v17, v43, v17
	v_sub_f32_e32 v34, v82, v37
	v_sub_f32_e32 v35, v83, v38
	v_fma_f32 v38, v46, 2.0, -v18
	v_fma_f32 v39, v47, 2.0, -v19
	;; [unrolled: 1-line block ×10, first 2 shown]
	ds_write2_b64 v102, v[18:19], v[12:13] offset0:12 offset1:18
	ds_write2_b64 v102, v[38:39], v[20:21] offset1:6
	ds_write2_b64 v104, v[40:41], v[32:33] offset1:6
	ds_write2_b64 v104, v[22:23], v[14:15] offset0:12 offset1:18
	ds_write2_b64 v103, v[42:43], v[36:37] offset1:6
	ds_write2_b64 v103, v[34:35], v[16:17] offset0:12 offset1:18
	s_waitcnt lgkmcnt(0)
	s_barrier
	buffer_gl0_inv
	s_clause 0x5
	global_load_dwordx4 v[12:15], v[44:45], off offset:144
	global_load_dwordx4 v[16:19], v[28:29], off offset:144
	;; [unrolled: 1-line block ×3, first 2 shown]
	global_load_dwordx2 v[80:81], v[44:45], off offset:160
	global_load_dwordx2 v[84:85], v[28:29], off offset:160
	global_load_dwordx2 v[82:83], v[44:45], off offset:352
	ds_read2_b64 v[32:35], v98 offset0:96 offset1:112
	ds_read2_b64 v[36:39], v98 offset0:64 offset1:80
	;; [unrolled: 1-line block ×4, first 2 shown]
	ds_read2_b64 v[27:30], v98 offset1:16
	ds_read2_b64 v[86:89], v98 offset0:32 offset1:48
	s_waitcnt vmcnt(0) lgkmcnt(0)
	s_barrier
	buffer_gl0_inv
	v_mul_f32_e32 v24, v33, v15
	v_mul_f32_e32 v25, v32, v15
	;; [unrolled: 1-line block ×18, first 2 shown]
	v_fma_f32 v24, v32, v14, -v24
	v_fmac_f32_e32 v25, v33, v14
	v_fmac_f32_e32 v93, v35, v18
	;; [unrolled: 1-line block ×3, first 2 shown]
	v_fma_f32 v35, v42, v80, -v96
	v_fmac_f32_e32 v97, v43, v80
	v_fma_f32 v39, v88, v12, -v112
	v_fmac_f32_e32 v113, v89, v12
	v_fma_f32 v32, v34, v18, -v92
	v_fma_f32 v33, v36, v16, -v90
	v_fmac_f32_e32 v91, v37, v16
	v_fma_f32 v37, v44, v84, -v108
	v_fmac_f32_e32 v109, v45, v84
	v_fma_f32 v34, v38, v20, -v94
	v_fma_f32 v36, v40, v22, -v106
	v_fmac_f32_e32 v107, v41, v22
	v_fma_f32 v38, v46, v82, -v110
	v_fmac_f32_e32 v111, v47, v82
	v_sub_f32_e32 v40, v27, v24
	v_sub_f32_e32 v41, v28, v25
	;; [unrolled: 1-line block ×12, first 2 shown]
	v_fma_f32 v46, v27, 2.0, -v40
	v_fma_f32 v47, v28, 2.0, -v41
	;; [unrolled: 1-line block ×8, first 2 shown]
	v_sub_f32_e32 v24, v40, v24
	v_add_f32_e32 v25, v41, v25
	v_fma_f32 v86, v86, 2.0, -v44
	v_fma_f32 v87, v87, 2.0, -v45
	;; [unrolled: 1-line block ×4, first 2 shown]
	v_sub_f32_e32 v27, v42, v35
	v_add_f32_e32 v28, v43, v32
	v_sub_f32_e32 v29, v44, v37
	v_add_f32_e32 v30, v45, v36
	v_sub_f32_e32 v32, v46, v38
	v_sub_f32_e32 v33, v47, v39
	;; [unrolled: 1-line block ×4, first 2 shown]
	v_fma_f32 v34, v40, 2.0, -v24
	v_fma_f32 v35, v41, 2.0, -v25
	v_sub_f32_e32 v40, v86, v92
	v_sub_f32_e32 v41, v87, v93
	v_fma_f32 v38, v42, 2.0, -v27
	v_fma_f32 v39, v43, 2.0, -v28
	;; [unrolled: 1-line block ×10, first 2 shown]
	ds_write2_b64 v98, v[44:45], v[34:35] offset1:24
	ds_write2_b64 v98, v[32:33], v[24:25] offset0:48 offset1:72
	ds_write2_b64 v105, v[46:47], v[38:39] offset1:24
	ds_write2_b64 v105, v[36:37], v[27:28] offset0:48 offset1:72
	ds_write2_b64 v98, v[86:87], v[42:43] offset0:104 offset1:128
	;; [unrolled: 1-line block ×3, first 2 shown]
	s_waitcnt lgkmcnt(0)
	s_barrier
	buffer_gl0_inv
	s_clause 0x5
	global_load_dwordx2 v[86:87], v26, s[10:11] offset:720
	global_load_dwordx2 v[88:89], v26, s[10:11] offset:848
	global_load_dwordx2 v[90:91], v26, s[10:11] offset:976
	global_load_dwordx2 v[92:93], v26, s[10:11] offset:1104
	global_load_dwordx2 v[94:95], v26, s[10:11] offset:1232
	global_load_dwordx2 v[96:97], v26, s[10:11] offset:1360
	ds_read2_b64 v[27:30], v98 offset0:96 offset1:112
	ds_read2_b64 v[32:35], v98 offset0:128 offset1:144
	;; [unrolled: 1-line block ×3, first 2 shown]
	ds_read2_b64 v[40:43], v98 offset1:16
	ds_read2_b64 v[44:47], v98 offset0:32 offset1:48
	ds_read2_b64 v[106:109], v98 offset0:64 offset1:80
	s_waitcnt vmcnt(5) lgkmcnt(5)
	v_mul_f32_e32 v24, v28, v87
	v_mul_f32_e32 v25, v27, v87
	s_waitcnt vmcnt(4)
	v_mul_f32_e32 v110, v30, v89
	v_mul_f32_e32 v111, v29, v89
	s_waitcnt vmcnt(3) lgkmcnt(4)
	v_mul_f32_e32 v112, v33, v91
	v_mul_f32_e32 v113, v32, v91
	s_waitcnt vmcnt(2)
	v_mul_f32_e32 v114, v35, v93
	v_mul_f32_e32 v115, v34, v93
	;; [unrolled: 6-line block ×3, first 2 shown]
	v_fma_f32 v24, v27, v86, -v24
	v_fmac_f32_e32 v25, v28, v86
	v_fma_f32 v27, v29, v88, -v110
	v_fmac_f32_e32 v111, v30, v88
	v_fma_f32 v29, v32, v90, -v112
	v_fmac_f32_e32 v113, v33, v90
	v_fma_f32 v32, v34, v92, -v114
	v_fmac_f32_e32 v115, v35, v92
	v_fma_f32 v34, v36, v94, -v116
	v_fmac_f32_e32 v117, v37, v94
	v_fma_f32 v36, v38, v96, -v118
	v_fmac_f32_e32 v119, v39, v96
	s_waitcnt lgkmcnt(2)
	v_sub_f32_e32 v24, v40, v24
	v_sub_f32_e32 v25, v41, v25
	v_sub_f32_e32 v27, v42, v27
	v_sub_f32_e32 v28, v43, v111
	s_waitcnt lgkmcnt(1)
	v_sub_f32_e32 v29, v44, v29
	v_sub_f32_e32 v30, v45, v113
	v_sub_f32_e32 v32, v46, v32
	v_sub_f32_e32 v33, v47, v115
	;; [unrolled: 5-line block ×3, first 2 shown]
	v_fma_f32 v38, v40, 2.0, -v24
	v_fma_f32 v39, v41, 2.0, -v25
	;; [unrolled: 1-line block ×12, first 2 shown]
	ds_write_b64 v98, v[38:39]
	ds_write_b64 v99, v[24:25] offset:768
	ds_write_b64 v98, v[40:41] offset:128
	;; [unrolled: 1-line block ×6, first 2 shown]
	ds_write2_b64 v99, v[32:33], v[34:35] offset0:144 offset1:160
	ds_write2_b64 v99, v[46:47], v[106:107] offset0:64 offset1:80
	ds_write_b64 v99, v[36:37] offset:1408
	s_waitcnt lgkmcnt(0)
	s_barrier
	buffer_gl0_inv
	s_clause 0xb
	global_load_dwordx2 v[24:25], v26, s[6:7] offset:256
	global_load_dwordx2 v[28:29], v26, s[8:9] offset:1536
	;; [unrolled: 1-line block ×12, first 2 shown]
	ds_read_b64 v[26:27], v98 offset:256
	ds_read_b64 v[110:111], v98
	s_waitcnt vmcnt(11) lgkmcnt(1)
	v_mul_f32_e32 v30, v27, v25
	v_mul_f32_e32 v113, v26, v25
	v_fma_f32 v112, v26, v24, -v30
	v_fmac_f32_e32 v113, v27, v24
	s_waitcnt vmcnt(10) lgkmcnt(0)
	v_mul_f32_e32 v30, v110, v29
	ds_write_b64 v98, v[112:113] offset:256
	ds_read2_b64 v[24:27], v98 offset0:64 offset1:96
	v_mul_f32_e32 v112, v111, v29
	v_fmac_f32_e32 v30, v111, v28
	v_fma_f32 v29, v110, v28, -v112
	s_waitcnt vmcnt(9) lgkmcnt(0)
	v_mul_f32_e32 v110, v25, v33
	v_mul_f32_e32 v112, v24, v33
	s_waitcnt vmcnt(8)
	v_mul_f32_e32 v113, v27, v35
	v_mul_f32_e32 v33, v26, v35
	v_fma_f32 v111, v24, v32, -v110
	v_fmac_f32_e32 v112, v25, v32
	v_fma_f32 v32, v26, v34, -v113
	v_fmac_f32_e32 v33, v27, v34
	ds_write_b64 v98, v[29:30]
	ds_write2_b64 v98, v[111:112], v[32:33] offset0:64 offset1:96
	ds_read_b64 v[24:25], v99 offset:1024
	ds_read_b64 v[26:27], v99 offset:1280
	s_waitcnt vmcnt(7) lgkmcnt(1)
	v_mul_f32_e32 v28, v25, v37
	v_mul_f32_e32 v29, v24, v37
	s_waitcnt vmcnt(6) lgkmcnt(0)
	v_mul_f32_e32 v30, v27, v39
	v_mul_f32_e32 v33, v26, v39
	v_fma_f32 v28, v24, v36, -v28
	v_fmac_f32_e32 v29, v25, v36
	v_fma_f32 v32, v26, v38, -v30
	v_fmac_f32_e32 v33, v27, v38
	ds_write_b64 v99, v[28:29] offset:1024
	ds_write_b64 v99, v[32:33] offset:1280
	ds_read_b64 v[24:25], v98 offset:128
	ds_read_b64 v[26:27], v98 offset:384
	s_waitcnt vmcnt(4) lgkmcnt(1)
	v_mul_f32_e32 v28, v25, v43
	v_mul_f32_e32 v29, v24, v43
	s_waitcnt lgkmcnt(0)
	v_mul_f32_e32 v30, v27, v41
	v_mul_f32_e32 v33, v26, v41
	v_fma_f32 v28, v24, v42, -v28
	v_fmac_f32_e32 v29, v25, v42
	v_fma_f32 v32, v26, v40, -v30
	v_fmac_f32_e32 v33, v27, v40
	ds_write_b64 v98, v[28:29] offset:128
	ds_write_b64 v98, v[32:33] offset:384
	ds_read_b64 v[24:25], v99 offset:640
	s_waitcnt vmcnt(2) lgkmcnt(0)
	v_mul_f32_e32 v26, v25, v47
	v_mul_f32_e32 v27, v24, v47
	v_fma_f32 v26, v24, v46, -v26
	v_fmac_f32_e32 v27, v25, v46
	ds_write_b64 v99, v[26:27] offset:640
	ds_read_b64 v[24:25], v98 offset:896
	s_waitcnt lgkmcnt(0)
	v_mul_f32_e32 v26, v25, v45
	v_mul_f32_e32 v27, v24, v45
	v_fma_f32 v26, v24, v44, -v26
	v_fmac_f32_e32 v27, v25, v44
	ds_write_b64 v98, v[26:27] offset:896
	ds_read_b64 v[24:25], v99 offset:1152
	ds_read_b64 v[26:27], v99 offset:1408
	s_waitcnt vmcnt(0) lgkmcnt(1)
	v_mul_f32_e32 v28, v25, v109
	v_mul_f32_e32 v29, v24, v109
	s_waitcnt lgkmcnt(0)
	v_mul_f32_e32 v30, v27, v107
	v_mul_f32_e32 v33, v26, v107
	v_fma_f32 v28, v24, v108, -v28
	v_fmac_f32_e32 v29, v25, v108
	v_fma_f32 v32, v26, v106, -v30
	v_fmac_f32_e32 v33, v27, v106
	ds_write_b64 v99, v[28:29] offset:1152
	ds_write_b64 v99, v[32:33] offset:1408
	s_waitcnt lgkmcnt(0)
	s_barrier
	buffer_gl0_inv
	ds_read2_b64 v[24:27], v98 offset1:16
	ds_read2_b64 v[32:35], v98 offset0:64 offset1:96
	ds_read2_b64 v[41:44], v99 offset0:80 offset1:128
	;; [unrolled: 1-line block ×4, first 2 shown]
	ds_read_b64 v[28:29], v98 offset:896
	ds_read_b64 v[36:37], v99 offset:1408
	s_waitcnt lgkmcnt(0)
	s_barrier
	buffer_gl0_inv
	v_add_f32_e32 v30, v24, v32
	v_add_f32_e32 v47, v25, v33
	;; [unrolled: 1-line block ×4, first 2 shown]
	v_sub_f32_e32 v40, v42, v115
	v_add_f32_e32 v45, v42, v115
	v_add_f32_e32 v42, v29, v37
	;; [unrolled: 1-line block ×3, first 2 shown]
	v_sub_f32_e32 v109, v33, v44
	v_add_f32_e32 v38, v33, v44
	v_sub_f32_e32 v33, v32, v43
	v_add_f32_e32 v107, v34, v116
	v_sub_f32_e32 v119, v34, v116
	v_add_f32_e32 v30, v30, v43
	v_add_f32_e32 v43, v47, v44
	v_add_f32_e32 v44, v113, v29
	v_sub_f32_e32 v121, v28, v36
	v_add_f32_e32 v122, v28, v36
	v_fma_f32 v106, -0.5, v106, v111
	v_fmac_f32_e32 v113, -0.5, v42
	v_add_f32_e32 v32, v110, v34
	v_sub_f32_e32 v118, v35, v117
	v_add_f32_e32 v28, v112, v28
	v_fma_f32 v47, -0.5, v107, v110
	v_fma_f32 v46, -0.5, v46, v24
	v_fma_f32 v107, -0.5, v122, v112
	v_fmamk_f32 v112, v119, 0x3f5db3d7, v106
	v_fmamk_f32 v110, v121, 0x3f5db3d7, v113
	v_fmac_f32_e32 v113, 0xbf5db3d7, v121
	v_fmac_f32_e32 v106, 0xbf5db3d7, v119
	v_add_f32_e32 v35, v111, v35
	v_add_f32_e32 v34, v26, v41
	;; [unrolled: 1-line block ×3, first 2 shown]
	v_fmamk_f32 v111, v118, 0xbf5db3d7, v47
	v_fmamk_f32 v116, v109, 0xbf5db3d7, v46
	v_fmac_f32_e32 v46, 0x3f5db3d7, v109
	v_fmac_f32_e32 v47, 0x3f5db3d7, v118
	v_mul_f32_e32 v24, 0xbf5db3d7, v113
	v_mul_f32_e32 v109, -0.5, v113
	v_mul_f32_e32 v113, 0xbf5db3d7, v106
	v_add_f32_e32 v39, v41, v114
	v_sub_f32_e32 v41, v41, v114
	v_add_f32_e32 v114, v34, v114
	v_add_f32_e32 v42, v28, v36
	v_fmac_f32_e32 v113, -0.5, v47
	v_add_f32_e32 v28, v30, v32
	v_sub_f32_e32 v34, v30, v32
	v_sub_f32_e32 v108, v29, v37
	v_add_f32_e32 v36, v114, v42
	v_sub_f32_e32 v42, v114, v42
	v_add_f32_e32 v32, v46, v113
	v_sub_f32_e32 v46, v46, v113
	v_mad_u64_u32 v[113:114], null, s0, v31, 0
	v_add_f32_e32 v35, v35, v117
	v_add_f32_e32 v115, v120, v115
	;; [unrolled: 1-line block ×3, first 2 shown]
	v_fma_f32 v26, -0.5, v39, v26
	v_fmac_f32_e32 v27, -0.5, v45
	v_add_f32_e32 v29, v43, v35
	v_sub_f32_e32 v35, v43, v35
	v_add_f32_e32 v37, v115, v44
	v_sub_f32_e32 v43, v115, v44
	v_mad_u64_u32 v[114:115], null, s1, v31, v[114:115]
	v_fmamk_f32 v31, v108, 0xbf5db3d7, v107
	v_fmac_f32_e32 v107, 0x3f5db3d7, v108
	v_mul_f32_e32 v44, 0xbf5db3d7, v112
	v_fma_f32 v25, -0.5, v38, v25
	v_fmamk_f32 v39, v40, 0xbf5db3d7, v26
	v_fmac_f32_e32 v26, 0x3f5db3d7, v40
	v_mul_f32_e32 v40, 0.5, v112
	v_fmamk_f32 v115, v41, 0x3f5db3d7, v27
	v_fmac_f32_e32 v27, 0xbf5db3d7, v41
	v_mul_f32_e32 v41, -0.5, v106
	v_fmac_f32_e32 v109, 0x3f5db3d7, v107
	v_fmac_f32_e32 v24, -0.5, v107
	v_mul_f32_e32 v106, 0xbf5db3d7, v110
	v_mul_f32_e32 v107, 0.5, v110
	v_fmac_f32_e32 v44, 0.5, v111
	v_fmamk_f32 v38, v33, 0x3f5db3d7, v25
	v_fmac_f32_e32 v40, 0x3f5db3d7, v111
	v_fmac_f32_e32 v25, 0xbf5db3d7, v33
	;; [unrolled: 1-line block ×3, first 2 shown]
	v_fmac_f32_e32 v106, 0.5, v31
	v_fmac_f32_e32 v107, 0x3f5db3d7, v31
	v_add_f32_e32 v30, v116, v44
	v_add_f32_e32 v31, v38, v40
	;; [unrolled: 1-line block ×3, first 2 shown]
	v_sub_f32_e32 v44, v116, v44
	v_sub_f32_e32 v45, v38, v40
	v_sub_f32_e32 v47, v25, v41
	v_add_f32_e32 v38, v39, v106
	v_sub_f32_e32 v106, v39, v106
	v_add_f32_e32 v39, v115, v107
	v_add_f32_e32 v41, v27, v109
	;; [unrolled: 1-line block ×3, first 2 shown]
	v_sub_f32_e32 v109, v27, v109
	v_sub_f32_e32 v108, v26, v24
	;; [unrolled: 1-line block ×3, first 2 shown]
	ds_write_b128 v100, v[28:31]
	ds_write_b128 v100, v[32:35] offset:16
	ds_write_b128 v100, v[44:47] offset:32
	ds_write_b128 v101, v[36:39]
	ds_write_b128 v101, v[40:43] offset:16
	ds_write_b128 v101, v[106:109] offset:32
	v_lshlrev_b64 v[40:41], 3, v[72:73]
	s_waitcnt lgkmcnt(0)
	s_barrier
	buffer_gl0_inv
	ds_read2_b64 v[24:27], v98 offset0:64 offset1:80
	ds_read2_b64 v[28:31], v98 offset0:128 offset1:144
	;; [unrolled: 1-line block ×3, first 2 shown]
	v_add_co_u32 v100, vcc_lo, s4, v40
	ds_read2_b64 v[36:39], v98 offset0:160 offset1:176
	v_add_co_ci_u32_e32 v101, vcc_lo, s5, v41, vcc_lo
	ds_read2_b64 v[40:43], v98 offset0:32 offset1:48
	ds_read2_b64 v[44:47], v98 offset1:16
	v_lshlrev_b64 v[72:73], 3, v[113:114]
	s_waitcnt lgkmcnt(0)
	s_barrier
	buffer_gl0_inv
	s_mulk_i32 s1, 0xfb80
	v_mul_f32_e32 v106, v5, v25
	v_mul_f32_e32 v5, v5, v24
	;; [unrolled: 1-line block ×18, first 2 shown]
	v_fmac_f32_e32 v106, v4, v24
	v_fma_f32 v4, v4, v25, -v5
	v_fma_f32 v5, v8, v27, -v9
	v_fmac_f32_e32 v109, v78, v30
	v_fma_f32 v9, v78, v31, -v79
	v_fmac_f32_e32 v111, v2, v32
	;; [unrolled: 2-line block ×6, first 2 shown]
	v_fmac_f32_e32 v108, v10, v28
	v_fma_f32 v8, v10, v29, -v11
	v_fmac_f32_e32 v113, v74, v38
	v_fma_f32 v7, v74, v39, -v75
	v_sub_f32_e32 v10, v44, v111
	v_sub_f32_e32 v11, v45, v2
	;; [unrolled: 1-line block ×12, first 2 shown]
	v_fma_f32 v30, v44, 2.0, -v10
	v_fma_f32 v31, v45, 2.0, -v11
	;; [unrolled: 1-line block ×6, first 2 shown]
	v_add_f32_e32 v0, v10, v2
	v_sub_f32_e32 v1, v11, v1
	v_fma_f32 v27, v106, 2.0, -v6
	v_fma_f32 v34, v4, 2.0, -v3
	;; [unrolled: 1-line block ×6, first 2 shown]
	v_add_f32_e32 v2, v24, v3
	v_sub_f32_e32 v3, v25, v6
	v_add_f32_e32 v4, v28, v7
	v_sub_f32_e32 v6, v30, v9
	v_sub_f32_e32 v7, v31, v26
	;; [unrolled: 1-line block ×3, first 2 shown]
	v_fma_f32 v8, v10, 2.0, -v0
	v_fma_f32 v9, v11, 2.0, -v1
	v_sub_f32_e32 v10, v32, v27
	v_sub_f32_e32 v11, v33, v34
	;; [unrolled: 1-line block ×4, first 2 shown]
	v_fma_f32 v30, v30, 2.0, -v6
	v_fma_f32 v31, v31, 2.0, -v7
	;; [unrolled: 1-line block ×10, first 2 shown]
	ds_write2_b64 v102, v[6:7], v[0:1] offset0:12 offset1:18
	ds_write2_b64 v102, v[30:31], v[8:9] offset1:6
	ds_write2_b64 v104, v[32:33], v[24:25] offset1:6
	ds_write2_b64 v104, v[10:11], v[2:3] offset0:12 offset1:18
	ds_write2_b64 v103, v[34:35], v[28:29] offset1:6
	ds_write2_b64 v103, v[26:27], v[4:5] offset0:12 offset1:18
	s_waitcnt lgkmcnt(0)
	s_barrier
	buffer_gl0_inv
	ds_read2_b64 v[6:9], v98 offset0:32 offset1:48
	ds_read2_b64 v[24:27], v98 offset0:96 offset1:112
	;; [unrolled: 1-line block ×5, first 2 shown]
	ds_read2_b64 v[40:43], v98 offset1:16
	v_add_co_u32 v0, vcc_lo, v100, v72
	v_add_co_ci_u32_e32 v1, vcc_lo, v101, v73, vcc_lo
	s_waitcnt lgkmcnt(0)
	s_barrier
	buffer_gl0_inv
	v_add_co_u32 v2, vcc_lo, v0, s2
	v_add_co_ci_u32_e32 v3, vcc_lo, s3, v1, vcc_lo
	v_add_co_u32 v4, vcc_lo, v2, s2
	v_add_co_ci_u32_e32 v5, vcc_lo, s3, v3, vcc_lo
	v_mul_f32_e32 v10, v13, v9
	v_mul_f32_e32 v11, v13, v8
	;; [unrolled: 1-line block ×18, first 2 shown]
	v_fmac_f32_e32 v10, v12, v8
	v_fma_f32 v8, v12, v9, -v11
	v_fmac_f32_e32 v13, v14, v24
	v_fma_f32 v9, v14, v25, -v15
	;; [unrolled: 2-line block ×9, first 2 shown]
	v_sub_f32_e32 v19, v40, v13
	v_sub_f32_e32 v20, v41, v9
	;; [unrolled: 1-line block ×12, first 2 shown]
	v_fma_f32 v25, v40, 2.0, -v19
	v_fma_f32 v26, v41, 2.0, -v20
	v_fma_f32 v18, v10, 2.0, -v9
	v_fma_f32 v27, v8, 2.0, -v13
	v_fma_f32 v28, v42, 2.0, -v21
	v_fma_f32 v29, v43, 2.0, -v22
	v_fma_f32 v30, v47, 2.0, -v11
	v_fma_f32 v31, v12, 2.0, -v14
	v_sub_f32_e32 v9, v20, v9
	v_add_f32_e32 v10, v21, v14
	v_fma_f32 v32, v6, 2.0, -v23
	v_fma_f32 v33, v7, 2.0, -v24
	v_fma_f32 v34, v74, 2.0, -v15
	v_fma_f32 v35, v16, 2.0, -v17
	v_add_f32_e32 v8, v19, v13
	v_sub_f32_e32 v11, v22, v11
	v_add_f32_e32 v6, v23, v17
	v_sub_f32_e32 v7, v24, v15
	v_sub_f32_e32 v12, v25, v18
	;; [unrolled: 1-line block ×5, first 2 shown]
	v_fma_f32 v15, v20, 2.0, -v9
	v_fma_f32 v18, v21, 2.0, -v10
	v_sub_f32_e32 v20, v32, v34
	v_sub_f32_e32 v21, v33, v35
	v_fma_f32 v14, v19, 2.0, -v8
	v_fma_f32 v19, v22, 2.0, -v11
	;; [unrolled: 1-line block ×10, first 2 shown]
	ds_write2_b64 v98, v[24:25], v[14:15] offset1:24
	ds_write2_b64 v98, v[12:13], v[8:9] offset0:48 offset1:72
	ds_write2_b64 v105, v[26:27], v[18:19] offset1:24
	ds_write2_b64 v105, v[16:17], v[10:11] offset0:48 offset1:72
	ds_write2_b64 v98, v[28:29], v[22:23] offset0:104 offset1:128
	;; [unrolled: 1-line block ×3, first 2 shown]
	s_waitcnt lgkmcnt(0)
	s_barrier
	buffer_gl0_inv
	ds_read2_b64 v[10:13], v98 offset0:96 offset1:112
	ds_read2_b64 v[14:17], v98 offset0:128 offset1:144
	;; [unrolled: 1-line block ×3, first 2 shown]
	ds_read2_b64 v[22:25], v98 offset1:16
	ds_read2_b64 v[26:29], v98 offset0:32 offset1:48
	ds_read2_b64 v[30:33], v98 offset0:64 offset1:80
	v_add_co_u32 v6, vcc_lo, v4, s2
	v_add_co_ci_u32_e32 v7, vcc_lo, s3, v5, vcc_lo
	v_add_co_u32 v8, vcc_lo, v6, s2
	v_add_co_ci_u32_e32 v9, vcc_lo, s3, v7, vcc_lo
	;; [unrolled: 2-line block ×3, first 2 shown]
	s_waitcnt lgkmcnt(5)
	v_mul_f32_e32 v38, v87, v11
	v_mul_f32_e32 v39, v87, v10
	v_mul_f32_e32 v40, v89, v13
	v_mul_f32_e32 v41, v89, v12
	s_waitcnt lgkmcnt(4)
	v_mul_f32_e32 v42, v91, v15
	v_mul_f32_e32 v43, v91, v14
	v_mul_f32_e32 v44, v93, v17
	v_mul_f32_e32 v45, v93, v16
	;; [unrolled: 5-line block ×3, first 2 shown]
	v_fmac_f32_e32 v38, v86, v10
	v_fma_f32 v11, v86, v11, -v39
	v_fmac_f32_e32 v40, v88, v12
	v_fma_f32 v13, v88, v13, -v41
	;; [unrolled: 2-line block ×6, first 2 shown]
	s_waitcnt lgkmcnt(2)
	v_sub_f32_e32 v10, v22, v38
	v_sub_f32_e32 v11, v23, v11
	v_sub_f32_e32 v12, v24, v40
	v_sub_f32_e32 v13, v25, v13
	s_waitcnt lgkmcnt(1)
	v_sub_f32_e32 v14, v26, v42
	v_sub_f32_e32 v15, v27, v15
	v_sub_f32_e32 v16, v28, v44
	v_sub_f32_e32 v17, v29, v17
	;; [unrolled: 5-line block ×3, first 2 shown]
	v_fma_f32 v22, v22, 2.0, -v10
	v_fma_f32 v23, v23, 2.0, -v11
	;; [unrolled: 1-line block ×12, first 2 shown]
	ds_write_b64 v98, v[10:11] offset:768
	ds_write2_b64 v98, v[22:23], v[24:25] offset1:16
	ds_write_b64 v98, v[12:13] offset:896
	ds_write_b64 v98, v[26:27] offset:256
	;; [unrolled: 1-line block ×7, first 2 shown]
	ds_write2_b64 v99, v[18:19], v[20:21] offset0:160 offset1:176
	s_waitcnt lgkmcnt(0)
	s_barrier
	buffer_gl0_inv
	ds_read2_b64 v[10:13], v98 offset1:16
	ds_read2_b64 v[14:17], v98 offset0:32 offset1:48
	ds_read2_b64 v[18:21], v98 offset0:64 offset1:96
	;; [unrolled: 1-line block ×4, first 2 shown]
	ds_read_b64 v[38:39], v98 offset:896
	ds_read_b64 v[40:41], v99 offset:1408
	v_mad_u64_u32 v[36:37], null, 0xfffffb80, s0, v[34:35]
	s_sub_i32 s0, s1, s0
	v_add_nc_u32_e32 v37, s0, v37
	s_mov_b32 s0, 0x55555555
	s_mov_b32 s1, 0x3f755555
	v_add_co_u32 v30, vcc_lo, v36, s2
	v_add_co_ci_u32_e32 v31, vcc_lo, s3, v37, vcc_lo
	s_waitcnt lgkmcnt(6)
	v_mul_f32_e32 v42, v49, v11
	v_mul_f32_e32 v43, v49, v10
	s_waitcnt lgkmcnt(5)
	v_mul_f32_e32 v44, v51, v15
	v_mul_f32_e32 v45, v51, v14
	;; [unrolled: 3-line block ×3, first 2 shown]
	v_mul_f32_e32 v49, v63, v21
	v_mul_f32_e32 v51, v63, v20
	s_waitcnt lgkmcnt(3)
	v_mul_f32_e32 v53, v55, v25
	v_mul_f32_e32 v55, v55, v24
	s_waitcnt lgkmcnt(2)
	v_mul_f32_e32 v63, v57, v29
	v_mul_f32_e32 v57, v57, v28
	;; [unrolled: 1-line block ×4, first 2 shown]
	v_fmac_f32_e32 v42, v48, v10
	v_fma_f32 v43, v48, v11, -v43
	v_mul_f32_e32 v73, v59, v17
	v_mul_f32_e32 v59, v59, v16
	v_fmac_f32_e32 v44, v50, v14
	v_fma_f32 v45, v50, v15, -v45
	v_fmac_f32_e32 v46, v52, v18
	v_fma_f32 v47, v52, v19, -v47
	v_mul_f32_e32 v74, v67, v23
	v_mul_f32_e32 v67, v67, v22
	v_fmac_f32_e32 v49, v62, v20
	v_fma_f32 v48, v62, v21, -v51
	s_waitcnt lgkmcnt(1)
	v_mul_f32_e32 v75, v65, v39
	v_mul_f32_e32 v65, v65, v38
	;; [unrolled: 1-line block ×4, first 2 shown]
	v_fmac_f32_e32 v53, v54, v24
	v_fma_f32 v50, v54, v25, -v55
	s_waitcnt lgkmcnt(0)
	v_mul_f32_e32 v77, v69, v41
	v_mul_f32_e32 v69, v69, v40
	v_fmac_f32_e32 v63, v56, v28
	v_fma_f32 v51, v56, v29, -v57
	v_fmac_f32_e32 v72, v60, v12
	v_fma_f32 v52, v60, v13, -v61
	v_cvt_f64_f32_e32 v[10:11], v42
	v_cvt_f64_f32_e32 v[12:13], v43
	v_fmac_f32_e32 v73, v58, v16
	v_fma_f32 v54, v58, v17, -v59
	v_cvt_f64_f32_e32 v[14:15], v44
	v_cvt_f64_f32_e32 v[16:17], v45
	;; [unrolled: 1-line block ×4, first 2 shown]
	v_fmac_f32_e32 v74, v66, v22
	v_fma_f32 v55, v66, v23, -v67
	v_cvt_f64_f32_e32 v[22:23], v49
	v_cvt_f64_f32_e32 v[24:25], v48
	v_fmac_f32_e32 v75, v64, v38
	v_fma_f32 v56, v64, v39, -v65
	v_fmac_f32_e32 v76, v70, v26
	v_fma_f32 v60, v70, v27, -v71
	v_cvt_f64_f32_e32 v[26:27], v53
	v_cvt_f64_f32_e32 v[28:29], v50
	v_fmac_f32_e32 v77, v68, v40
	v_fma_f32 v64, v68, v41, -v69
	v_cvt_f64_f32_e32 v[38:39], v63
	v_cvt_f64_f32_e32 v[40:41], v51
	;; [unrolled: 1-line block ×14, first 2 shown]
	v_mul_f64 v[10:11], v[10:11], s[0:1]
	v_mul_f64 v[12:13], v[12:13], s[0:1]
	;; [unrolled: 1-line block ×24, first 2 shown]
	v_cvt_f32_f64_e32 v10, v[10:11]
	v_cvt_f32_f64_e32 v11, v[12:13]
	;; [unrolled: 1-line block ×10, first 2 shown]
	v_add_co_u32 v32, vcc_lo, v30, s2
	v_cvt_f32_f64_e32 v20, v[38:39]
	v_cvt_f32_f64_e32 v21, v[40:41]
	v_cvt_f32_f64_e32 v22, v[42:43]
	v_cvt_f32_f64_e32 v23, v[44:45]
	v_add_co_ci_u32_e32 v33, vcc_lo, s3, v31, vcc_lo
	v_cvt_f32_f64_e32 v24, v[46:47]
	v_cvt_f32_f64_e32 v25, v[48:49]
	;; [unrolled: 1-line block ×8, first 2 shown]
	v_add_co_u32 v42, vcc_lo, v32, s2
	v_cvt_f32_f64_e32 v40, v[62:63]
	v_cvt_f32_f64_e32 v41, v[64:65]
	v_add_co_ci_u32_e32 v43, vcc_lo, s3, v33, vcc_lo
	v_add_co_u32 v44, vcc_lo, v42, s2
	v_add_co_ci_u32_e32 v45, vcc_lo, s3, v43, vcc_lo
	v_add_co_u32 v46, vcc_lo, v44, s2
	v_add_co_ci_u32_e32 v47, vcc_lo, s3, v45, vcc_lo
	global_store_dwordx2 v[0:1], v[10:11], off
	global_store_dwordx2 v[2:3], v[12:13], off
	;; [unrolled: 1-line block ×12, first 2 shown]
.LBB0_2:
	s_endpgm
	.section	.rodata,"a",@progbits
	.p2align	6, 0x0
	.amdhsa_kernel bluestein_single_fwd_len192_dim1_sp_op_CI_CI
		.amdhsa_group_segment_fixed_size 12288
		.amdhsa_private_segment_fixed_size 0
		.amdhsa_kernarg_size 104
		.amdhsa_user_sgpr_count 6
		.amdhsa_user_sgpr_private_segment_buffer 1
		.amdhsa_user_sgpr_dispatch_ptr 0
		.amdhsa_user_sgpr_queue_ptr 0
		.amdhsa_user_sgpr_kernarg_segment_ptr 1
		.amdhsa_user_sgpr_dispatch_id 0
		.amdhsa_user_sgpr_flat_scratch_init 0
		.amdhsa_user_sgpr_private_segment_size 0
		.amdhsa_wavefront_size32 1
		.amdhsa_uses_dynamic_stack 0
		.amdhsa_system_sgpr_private_segment_wavefront_offset 0
		.amdhsa_system_sgpr_workgroup_id_x 1
		.amdhsa_system_sgpr_workgroup_id_y 0
		.amdhsa_system_sgpr_workgroup_id_z 0
		.amdhsa_system_sgpr_workgroup_info 0
		.amdhsa_system_vgpr_workitem_id 0
		.amdhsa_next_free_vgpr 123
		.amdhsa_next_free_sgpr 20
		.amdhsa_reserve_vcc 1
		.amdhsa_reserve_flat_scratch 0
		.amdhsa_float_round_mode_32 0
		.amdhsa_float_round_mode_16_64 0
		.amdhsa_float_denorm_mode_32 3
		.amdhsa_float_denorm_mode_16_64 3
		.amdhsa_dx10_clamp 1
		.amdhsa_ieee_mode 1
		.amdhsa_fp16_overflow 0
		.amdhsa_workgroup_processor_mode 1
		.amdhsa_memory_ordered 1
		.amdhsa_forward_progress 0
		.amdhsa_shared_vgpr_count 0
		.amdhsa_exception_fp_ieee_invalid_op 0
		.amdhsa_exception_fp_denorm_src 0
		.amdhsa_exception_fp_ieee_div_zero 0
		.amdhsa_exception_fp_ieee_overflow 0
		.amdhsa_exception_fp_ieee_underflow 0
		.amdhsa_exception_fp_ieee_inexact 0
		.amdhsa_exception_int_div_zero 0
	.end_amdhsa_kernel
	.text
.Lfunc_end0:
	.size	bluestein_single_fwd_len192_dim1_sp_op_CI_CI, .Lfunc_end0-bluestein_single_fwd_len192_dim1_sp_op_CI_CI
                                        ; -- End function
	.section	.AMDGPU.csdata,"",@progbits
; Kernel info:
; codeLenInByte = 7672
; NumSgprs: 22
; NumVgprs: 123
; ScratchSize: 0
; MemoryBound: 0
; FloatMode: 240
; IeeeMode: 1
; LDSByteSize: 12288 bytes/workgroup (compile time only)
; SGPRBlocks: 2
; VGPRBlocks: 15
; NumSGPRsForWavesPerEU: 22
; NumVGPRsForWavesPerEU: 123
; Occupancy: 8
; WaveLimiterHint : 1
; COMPUTE_PGM_RSRC2:SCRATCH_EN: 0
; COMPUTE_PGM_RSRC2:USER_SGPR: 6
; COMPUTE_PGM_RSRC2:TRAP_HANDLER: 0
; COMPUTE_PGM_RSRC2:TGID_X_EN: 1
; COMPUTE_PGM_RSRC2:TGID_Y_EN: 0
; COMPUTE_PGM_RSRC2:TGID_Z_EN: 0
; COMPUTE_PGM_RSRC2:TIDIG_COMP_CNT: 0
	.text
	.p2alignl 6, 3214868480
	.fill 48, 4, 3214868480
	.type	__hip_cuid_4c4f1edea7c4e83,@object ; @__hip_cuid_4c4f1edea7c4e83
	.section	.bss,"aw",@nobits
	.globl	__hip_cuid_4c4f1edea7c4e83
__hip_cuid_4c4f1edea7c4e83:
	.byte	0                               ; 0x0
	.size	__hip_cuid_4c4f1edea7c4e83, 1

	.ident	"AMD clang version 19.0.0git (https://github.com/RadeonOpenCompute/llvm-project roc-6.4.0 25133 c7fe45cf4b819c5991fe208aaa96edf142730f1d)"
	.section	".note.GNU-stack","",@progbits
	.addrsig
	.addrsig_sym __hip_cuid_4c4f1edea7c4e83
	.amdgpu_metadata
---
amdhsa.kernels:
  - .args:
      - .actual_access:  read_only
        .address_space:  global
        .offset:         0
        .size:           8
        .value_kind:     global_buffer
      - .actual_access:  read_only
        .address_space:  global
        .offset:         8
        .size:           8
        .value_kind:     global_buffer
      - .actual_access:  read_only
        .address_space:  global
        .offset:         16
        .size:           8
        .value_kind:     global_buffer
      - .actual_access:  read_only
        .address_space:  global
        .offset:         24
        .size:           8
        .value_kind:     global_buffer
      - .actual_access:  read_only
        .address_space:  global
        .offset:         32
        .size:           8
        .value_kind:     global_buffer
      - .offset:         40
        .size:           8
        .value_kind:     by_value
      - .address_space:  global
        .offset:         48
        .size:           8
        .value_kind:     global_buffer
      - .address_space:  global
        .offset:         56
        .size:           8
        .value_kind:     global_buffer
      - .address_space:  global
        .offset:         64
        .size:           8
        .value_kind:     global_buffer
      - .address_space:  global
        .offset:         72
        .size:           8
        .value_kind:     global_buffer
      - .offset:         80
        .size:           4
        .value_kind:     by_value
      - .address_space:  global
        .offset:         88
        .size:           8
        .value_kind:     global_buffer
      - .address_space:  global
        .offset:         96
        .size:           8
        .value_kind:     global_buffer
    .group_segment_fixed_size: 12288
    .kernarg_segment_align: 8
    .kernarg_segment_size: 104
    .language:       OpenCL C
    .language_version:
      - 2
      - 0
    .max_flat_workgroup_size: 128
    .name:           bluestein_single_fwd_len192_dim1_sp_op_CI_CI
    .private_segment_fixed_size: 0
    .sgpr_count:     22
    .sgpr_spill_count: 0
    .symbol:         bluestein_single_fwd_len192_dim1_sp_op_CI_CI.kd
    .uniform_work_group_size: 1
    .uses_dynamic_stack: false
    .vgpr_count:     123
    .vgpr_spill_count: 0
    .wavefront_size: 32
    .workgroup_processor_mode: 1
amdhsa.target:   amdgcn-amd-amdhsa--gfx1030
amdhsa.version:
  - 1
  - 2
...

	.end_amdgpu_metadata
